;; amdgpu-corpus repo=ROCm/rocFFT kind=compiled arch=gfx1030 opt=O3
	.text
	.amdgcn_target "amdgcn-amd-amdhsa--gfx1030"
	.amdhsa_code_object_version 6
	.protected	fft_rtc_back_len240_factors_8_5_6_wgs_384_tpt_48_half_op_CI_CI_sbcc_twdbase5_3step_dirReg_intrinsicReadWrite ; -- Begin function fft_rtc_back_len240_factors_8_5_6_wgs_384_tpt_48_half_op_CI_CI_sbcc_twdbase5_3step_dirReg_intrinsicReadWrite
	.globl	fft_rtc_back_len240_factors_8_5_6_wgs_384_tpt_48_half_op_CI_CI_sbcc_twdbase5_3step_dirReg_intrinsicReadWrite
	.p2align	8
	.type	fft_rtc_back_len240_factors_8_5_6_wgs_384_tpt_48_half_op_CI_CI_sbcc_twdbase5_3step_dirReg_intrinsicReadWrite,@function
fft_rtc_back_len240_factors_8_5_6_wgs_384_tpt_48_half_op_CI_CI_sbcc_twdbase5_3step_dirReg_intrinsicReadWrite: ; @fft_rtc_back_len240_factors_8_5_6_wgs_384_tpt_48_half_op_CI_CI_sbcc_twdbase5_3step_dirReg_intrinsicReadWrite
; %bb.0:
	s_clause 0x1
	s_load_dwordx8 s[8:15], s[4:5], 0x8
	s_load_dwordx2 s[0:1], s[4:5], 0x28
	s_mov_b32 s2, exec_lo
	v_cmpx_gt_u32_e32 0x60, v0
	s_cbranch_execz .LBB0_2
; %bb.1:
	v_lshlrev_b32_e32 v1, 2, v0
	s_waitcnt lgkmcnt(0)
	global_load_dword v2, v1, s[8:9]
	v_add_nc_u32_e32 v1, 0, v1
	s_waitcnt vmcnt(0)
	ds_write_b32 v1, v2 offset:7680
.LBB0_2:
	s_or_b32 exec_lo, exec_lo, s2
	s_waitcnt lgkmcnt(0)
	s_load_dwordx2 s[28:29], s[12:13], 0x8
	s_mov_b32 s7, 0
	s_mov_b64 s[8:9], 0
	s_waitcnt lgkmcnt(0)
	s_add_u32 s2, s28, -1
	s_addc_u32 s3, s29, -1
	s_lshr_b64 s[2:3], s[2:3], 3
	s_add_u32 s30, s2, 1
	s_addc_u32 s31, s3, 0
	v_cmp_lt_u64_e64 s2, s[6:7], s[30:31]
	s_and_b32 vcc_lo, exec_lo, s2
	s_cbranch_vccnz .LBB0_4
; %bb.3:
	v_cvt_f32_u32_e32 v1, s30
	s_sub_i32 s3, 0, s30
	v_rcp_iflag_f32_e32 v1, v1
	v_mul_f32_e32 v1, 0x4f7ffffe, v1
	v_cvt_u32_f32_e32 v1, v1
	v_readfirstlane_b32 s2, v1
	s_mul_i32 s3, s3, s2
	s_mul_hi_u32 s3, s2, s3
	s_add_i32 s2, s2, s3
	s_mul_hi_u32 s2, s6, s2
	s_mul_i32 s3, s2, s30
	s_add_i32 s8, s2, 1
	s_sub_i32 s3, s6, s3
	s_sub_i32 s9, s3, s30
	s_cmp_ge_u32 s3, s30
	s_cselect_b32 s2, s8, s2
	s_cselect_b32 s3, s9, s3
	s_add_i32 s8, s2, 1
	s_cmp_ge_u32 s3, s30
	s_mov_b32 s9, s7
	s_cselect_b32 s8, s8, s2
.LBB0_4:
	s_load_dwordx4 s[24:27], s[14:15], 0x0
	s_load_dwordx4 s[16:19], s[0:1], 0x0
	s_mul_i32 s2, s8, s31
	s_mul_hi_u32 s3, s8, s30
	s_waitcnt lgkmcnt(0)
	s_mul_i32 s17, s8, s30
	s_add_i32 s3, s3, s2
	s_sub_u32 s34, s6, s17
	s_subb_u32 s35, 0, s3
	s_clause 0x1
	s_load_dwordx4 s[20:23], s[4:5], 0x60
	s_load_dwordx2 s[2:3], s[4:5], 0x0
	v_alignbit_b32 v1, s35, s34, 29
	s_lshl_b64 s[4:5], s[34:35], 3
	v_cmp_lt_u64_e64 s17, s[10:11], 3
	s_and_b32 vcc_lo, exec_lo, s17
	v_mul_lo_u32 v2, s26, v1
	v_mul_lo_u32 v1, s18, v1
	s_mul_hi_u32 s25, s26, s4
	s_mul_hi_u32 s34, s18, s4
	s_mul_i32 s27, s27, s4
	s_mul_i32 s33, s26, s4
	;; [unrolled: 1-line block ×3, first 2 shown]
	v_add_nc_u32_e32 v2, s25, v2
	v_add_nc_u32_e32 v3, s34, v1
	s_mul_i32 s25, s18, s4
	v_mov_b32_e32 v1, s33
	v_mov_b32_e32 v9, s25
	v_add_nc_u32_e32 v2, s27, v2
	v_add_nc_u32_e32 v3, s19, v3
	s_cbranch_vccnz .LBB0_13
; %bb.5:
	s_add_u32 s34, s0, 16
	s_addc_u32 s35, s1, 0
	s_add_u32 s36, s14, 16
	s_addc_u32 s37, s15, 0
	;; [unrolled: 2-line block ×3, first 2 shown]
	s_mov_b64 s[38:39], 2
	s_mov_b32 s40, 0
	s_branch .LBB0_7
.LBB0_6:                                ;   in Loop: Header=BB0_7 Depth=1
	s_load_dwordx2 s[46:47], s[36:37], 0x0
	s_load_dwordx2 s[48:49], s[34:35], 0x0
	s_mul_i32 s17, s42, s31
	s_mul_hi_u32 s19, s42, s30
	s_mul_i32 s27, s44, s43
	s_mul_hi_u32 s31, s44, s42
	s_mul_i32 s25, s43, s30
	s_mul_i32 s33, s45, s42
	s_add_i32 s17, s19, s17
	s_add_i32 s19, s31, s27
	s_mul_i32 s41, s44, s42
	s_add_i32 s31, s17, s25
	s_add_i32 s19, s19, s33
	s_sub_u32 s8, s8, s41
	s_subb_u32 s9, s9, s19
	s_mul_i32 s30, s42, s30
	s_waitcnt lgkmcnt(0)
	s_mul_i32 s17, s46, s9
	s_mul_hi_u32 s19, s46, s8
	s_mul_i32 s9, s48, s9
	s_mul_hi_u32 s33, s48, s8
	s_mul_i32 s25, s47, s8
	s_add_i32 s17, s19, s17
	s_add_i32 s9, s33, s9
	s_mul_i32 s19, s49, s8
	s_mul_i32 s27, s46, s8
	s_add_i32 s17, s17, s25
	s_add_i32 s9, s9, s19
	v_add_co_u32 v1, vcc_lo, s27, v1
	s_add_u32 s38, s38, 1
	s_mul_i32 s8, s48, s8
	s_addc_u32 s39, s39, 0
	v_add_co_ci_u32_e32 v2, vcc_lo, s17, v2, vcc_lo
	v_add_co_u32 v9, vcc_lo, s8, v9
	v_cmp_ge_u64_e64 s8, s[38:39], s[10:11]
	s_add_u32 s34, s34, 8
	s_addc_u32 s35, s35, 0
	v_add_co_ci_u32_e32 v3, vcc_lo, s9, v3, vcc_lo
	s_add_u32 s36, s36, 8
	s_addc_u32 s37, s37, 0
	s_add_u32 s12, s12, 8
	s_addc_u32 s13, s13, 0
	s_and_b32 vcc_lo, exec_lo, s8
	s_mov_b64 s[8:9], s[44:45]
	s_cbranch_vccnz .LBB0_11
.LBB0_7:                                ; =>This Inner Loop Header: Depth=1
	s_load_dwordx2 s[42:43], s[12:13], 0x0
	s_mov_b32 s17, -1
	s_waitcnt lgkmcnt(0)
	s_or_b64 s[44:45], s[8:9], s[42:43]
	s_mov_b32 s41, s45
                                        ; implicit-def: $sgpr44_sgpr45
	s_cmp_lg_u64 s[40:41], 0
	s_cbranch_scc0 .LBB0_9
; %bb.8:                                ;   in Loop: Header=BB0_7 Depth=1
	v_cvt_f32_u32_e32 v4, s42
	v_cvt_f32_u32_e32 v5, s43
	s_sub_u32 s25, 0, s42
	s_subb_u32 s27, 0, s43
	v_fmac_f32_e32 v4, 0x4f800000, v5
	v_rcp_f32_e32 v4, v4
	v_mul_f32_e32 v4, 0x5f7ffffc, v4
	v_mul_f32_e32 v5, 0x2f800000, v4
	v_trunc_f32_e32 v5, v5
	v_fmac_f32_e32 v4, 0xcf800000, v5
	v_cvt_u32_f32_e32 v5, v5
	v_cvt_u32_f32_e32 v4, v4
	v_readfirstlane_b32 s17, v5
	v_readfirstlane_b32 s19, v4
	s_mul_i32 s33, s25, s17
	s_mul_hi_u32 s44, s25, s19
	s_mul_i32 s41, s27, s19
	s_add_i32 s33, s44, s33
	s_mul_i32 s45, s25, s19
	s_add_i32 s33, s33, s41
	s_mul_hi_u32 s44, s19, s45
	s_mul_hi_u32 s46, s17, s45
	s_mul_i32 s41, s17, s45
	s_mul_hi_u32 s45, s19, s33
	s_mul_i32 s19, s19, s33
	s_mul_hi_u32 s47, s17, s33
	s_add_u32 s19, s44, s19
	s_addc_u32 s44, 0, s45
	s_add_u32 s19, s19, s41
	s_mul_i32 s33, s17, s33
	s_addc_u32 s19, s44, s46
	s_addc_u32 s41, s47, 0
	s_add_u32 s19, s19, s33
	s_addc_u32 s33, 0, s41
	v_add_co_u32 v4, s19, v4, s19
	s_cmp_lg_u32 s19, 0
	s_addc_u32 s17, s17, s33
	v_readfirstlane_b32 s19, v4
	s_mul_i32 s33, s25, s17
	s_mul_hi_u32 s41, s25, s19
	s_mul_i32 s27, s27, s19
	s_add_i32 s33, s41, s33
	s_mul_i32 s25, s25, s19
	s_add_i32 s33, s33, s27
	s_mul_hi_u32 s41, s17, s25
	s_mul_i32 s44, s17, s25
	s_mul_hi_u32 s25, s19, s25
	s_mul_hi_u32 s45, s19, s33
	s_mul_i32 s19, s19, s33
	s_mul_hi_u32 s27, s17, s33
	s_add_u32 s19, s25, s19
	s_addc_u32 s25, 0, s45
	s_add_u32 s19, s19, s44
	s_mul_i32 s33, s17, s33
	s_addc_u32 s19, s25, s41
	s_addc_u32 s25, s27, 0
	s_add_u32 s19, s19, s33
	s_addc_u32 s25, 0, s25
	v_add_co_u32 v4, s19, v4, s19
	s_cmp_lg_u32 s19, 0
	s_addc_u32 s17, s17, s25
	v_readfirstlane_b32 s19, v4
	s_mul_i32 s27, s8, s17
	s_mul_hi_u32 s25, s8, s17
	s_mul_hi_u32 s33, s9, s17
	s_mul_i32 s17, s9, s17
	s_mul_hi_u32 s41, s8, s19
	s_mul_hi_u32 s44, s9, s19
	s_mul_i32 s19, s9, s19
	s_add_u32 s27, s41, s27
	s_addc_u32 s25, 0, s25
	s_add_u32 s19, s27, s19
	s_addc_u32 s19, s25, s44
	s_addc_u32 s25, s33, 0
	s_add_u32 s19, s19, s17
	s_addc_u32 s25, 0, s25
	s_mul_hi_u32 s17, s42, s19
	s_mul_i32 s33, s42, s25
	s_mul_i32 s41, s42, s19
	s_add_i32 s17, s17, s33
	v_sub_co_u32 v4, s33, s8, s41
	s_mul_i32 s27, s43, s19
	s_add_i32 s17, s17, s27
	v_sub_co_u32 v5, s41, v4, s42
	s_sub_i32 s27, s9, s17
	s_cmp_lg_u32 s33, 0
	s_subb_u32 s27, s27, s43
	s_cmp_lg_u32 s41, 0
	v_readfirstlane_b32 s41, v5
	s_subb_u32 s27, s27, 0
	s_cmp_ge_u32 s27, s43
	s_cselect_b32 s44, -1, 0
	s_cmp_ge_u32 s41, s42
	s_cselect_b32 s41, -1, 0
	s_cmp_eq_u32 s27, s43
	s_cselect_b32 s27, s41, s44
	s_add_u32 s41, s19, 1
	s_addc_u32 s44, s25, 0
	s_add_u32 s45, s19, 2
	s_addc_u32 s46, s25, 0
	s_cmp_lg_u32 s27, 0
	s_cselect_b32 s27, s45, s41
	s_cselect_b32 s41, s46, s44
	s_cmp_lg_u32 s33, 0
	v_readfirstlane_b32 s33, v4
	s_subb_u32 s17, s9, s17
	s_cmp_ge_u32 s17, s43
	s_cselect_b32 s44, -1, 0
	s_cmp_ge_u32 s33, s42
	s_cselect_b32 s33, -1, 0
	s_cmp_eq_u32 s17, s43
	s_cselect_b32 s17, s33, s44
	s_cmp_lg_u32 s17, 0
	s_mov_b32 s17, 0
	s_cselect_b32 s45, s41, s25
	s_cselect_b32 s44, s27, s19
.LBB0_9:                                ;   in Loop: Header=BB0_7 Depth=1
	s_andn2_b32 vcc_lo, exec_lo, s17
	s_cbranch_vccnz .LBB0_6
; %bb.10:                               ;   in Loop: Header=BB0_7 Depth=1
	v_cvt_f32_u32_e32 v4, s42
	s_sub_i32 s19, 0, s42
	s_mov_b32 s45, s40
	v_rcp_iflag_f32_e32 v4, v4
	v_mul_f32_e32 v4, 0x4f7ffffe, v4
	v_cvt_u32_f32_e32 v4, v4
	v_readfirstlane_b32 s17, v4
	s_mul_i32 s19, s19, s17
	s_mul_hi_u32 s19, s17, s19
	s_add_i32 s17, s17, s19
	s_mul_hi_u32 s17, s8, s17
	s_mul_i32 s19, s17, s42
	s_add_i32 s25, s17, 1
	s_sub_i32 s19, s8, s19
	s_sub_i32 s27, s19, s42
	s_cmp_ge_u32 s19, s42
	s_cselect_b32 s17, s25, s17
	s_cselect_b32 s19, s27, s19
	s_add_i32 s25, s17, 1
	s_cmp_ge_u32 s19, s42
	s_cselect_b32 s44, s25, s17
	s_branch .LBB0_6
.LBB0_11:
	v_cmp_lt_u64_e64 s7, s[6:7], s[30:31]
	s_mov_b64 s[8:9], 0
	s_and_b32 vcc_lo, exec_lo, s7
	s_cbranch_vccnz .LBB0_13
; %bb.12:
	v_cvt_f32_u32_e32 v2, s30
	s_sub_i32 s8, 0, s30
	v_rcp_iflag_f32_e32 v2, v2
	v_mul_f32_e32 v2, 0x4f7ffffe, v2
	v_cvt_u32_f32_e32 v2, v2
	v_readfirstlane_b32 s7, v2
	s_mul_i32 s8, s8, s7
	s_mul_hi_u32 s8, s7, s8
	s_add_i32 s7, s7, s8
	s_mul_hi_u32 s7, s6, s7
	s_mul_i32 s8, s7, s30
	s_sub_i32 s6, s6, s8
	s_add_i32 s8, s7, 1
	s_sub_i32 s9, s6, s30
	s_cmp_ge_u32 s6, s30
	s_cselect_b32 s7, s8, s7
	s_cselect_b32 s6, s9, s6
	s_add_i32 s8, s7, 1
	s_cmp_ge_u32 s6, s30
	s_cselect_b32 s8, s8, s7
.LBB0_13:
	v_and_b32_e32 v10, 7, v0
	s_lshl_b64 s[6:7], s[10:11], 3
	v_mov_b32_e32 v4, s5
	s_add_u32 s12, s14, s6
	s_addc_u32 s13, s15, s7
	s_add_u32 s10, s0, s6
	v_or_b32_e32 v3, s4, v10
	s_addc_u32 s11, s1, s7
	s_add_u32 s0, s4, 8
	s_addc_u32 s1, s5, 0
	v_cmp_lt_u32_e32 vcc_lo, 0xef, v0
	v_cmp_le_u64_e64 s9, s[0:1], s[28:29]
	v_cmp_gt_u64_e64 s1, s[28:29], v[3:4]
	v_cmp_gt_u32_e64 s0, 0xf0, v0
	s_load_dword s6, s[12:13], 0x0
	v_lshrrev_b32_e32 v17, 3, v0
	v_mul_lo_u32 v4, s26, v10
	s_or_b32 vcc_lo, vcc_lo, s9
	v_cndmask_b32_e64 v2, 0, 1, s0
	v_cndmask_b32_e64 v11, 0, 1, s1
	v_mul_lo_u32 v5, s24, v17
	v_add_nc_u32_e32 v6, 30, v17
	v_add_nc_u32_e32 v7, 60, v17
	;; [unrolled: 1-line block ×3, first 2 shown]
	v_cndmask_b32_e32 v2, v11, v2, vcc_lo
	v_add_nc_u32_e32 v12, 0x96, v17
	v_mul_lo_u32 v6, s24, v6
	v_mul_lo_u32 v7, s24, v7
	v_add_lshl_u32 v5, v4, v5, 2
	v_and_b32_e32 v2, 1, v2
	v_add_nc_u32_e32 v13, 0xb4, v17
	v_add_nc_u32_e32 v14, 0xd2, v17
	v_mul_lo_u32 v8, s24, v8
	v_mul_lo_u32 v12, s24, v12
	v_cmp_eq_u32_e32 vcc_lo, 1, v2
	s_waitcnt lgkmcnt(0)
	s_mul_i32 s6, s6, s8
	v_mul_lo_u32 v13, s24, v13
	v_add_nc_u32_e32 v1, s6, v1
	v_mul_lo_u32 v14, s24, v14
	v_cndmask_b32_e32 v2, -1, v5, vcc_lo
	v_add_lshl_u32 v5, v4, v6, 2
	v_add_lshl_u32 v6, v4, v7, 2
	v_add_nc_u32_e32 v7, 0x5a, v17
	v_lshlrev_b32_e32 v1, 2, v1
	s_mov_b32 s7, 0x31014000
	s_mov_b32 s6, -2
	s_mov_b32 s4, s20
	v_mul_lo_u32 v7, s24, v7
	v_readfirstlane_b32 s1, v1
	v_cndmask_b32_e32 v1, -1, v5, vcc_lo
	v_cndmask_b32_e32 v5, -1, v6, vcc_lo
	s_mov_b32 s5, s21
	v_add_lshl_u32 v6, v4, v7, 2
	v_add_lshl_u32 v7, v4, v8, 2
	;; [unrolled: 1-line block ×5, first 2 shown]
	v_cndmask_b32_e32 v6, -1, v6, vcc_lo
	v_cndmask_b32_e32 v13, -1, v7, vcc_lo
	;; [unrolled: 1-line block ×5, first 2 shown]
	s_clause 0x7
	buffer_load_dword v8, v2, s[4:7], s1 offen
	buffer_load_dword v7, v1, s[4:7], s1 offen
	;; [unrolled: 1-line block ×8, first 2 shown]
	s_load_dwordx2 s[4:5], s[10:11], 0x0
	s_waitcnt vmcnt(3)
	v_pk_add_f16 v18, v8, v1 neg_lo:[0,1] neg_hi:[0,1]
	s_waitcnt vmcnt(2)
	v_pk_add_f16 v12, v15, v2 op_sel:[1,1] op_sel_hi:[0,0] neg_lo:[0,1] neg_hi:[0,1]
	s_waitcnt vmcnt(1)
	v_pk_add_f16 v14, v7, v5 neg_lo:[0,1] neg_hi:[0,1]
	s_waitcnt vmcnt(0)
	v_pk_add_f16 v13, v16, v4 op_sel:[1,1] op_sel_hi:[0,0] neg_lo:[0,1] neg_hi:[0,1]
	v_pk_add_f16 v1, v18, v12
	v_pk_add_f16 v5, v18, v12 neg_lo:[0,1] neg_hi:[0,1]
	v_pk_add_f16 v2, v14, v13
	v_pk_add_f16 v4, v14, v13 neg_lo:[0,1] neg_hi:[0,1]
	v_bfi_b32 v6, 0xffff, v2, v4
	v_bfi_b32 v4, 0xffff, v1, v5
	v_pk_fma_f16 v1, v14, 2.0, v6 op_sel_hi:[1,0,1] neg_lo:[0,0,1] neg_hi:[0,0,1]
	v_pk_fma_f16 v5, v18, 2.0, v4 op_sel_hi:[1,0,1] neg_lo:[0,0,1] neg_hi:[0,0,1]
	v_pk_mul_f16 v2, 0x39a8, v1 op_sel_hi:[0,1]
	v_pk_fma_f16 v1, 0x39a8, v1, v5 op_sel_hi:[0,1,1] neg_lo:[0,1,0] neg_hi:[0,1,0]
	v_pk_add_f16 v19, v1, v2 op_sel:[0,1] op_sel_hi:[1,0]
	v_pk_add_f16 v1, v1, v2 op_sel:[0,1] op_sel_hi:[1,0] neg_lo:[0,1] neg_hi:[0,1]
	v_bfi_b32 v2, 0xffff, v19, v1
	v_lshlrev_b32_e32 v1, 2, v10
	s_and_saveexec_b32 s1, s0
	s_cbranch_execz .LBB0_15
; %bb.14:
	v_alignbit_b32 v15, v15, v15, 16
	v_alignbit_b32 v16, v16, v16, 16
	v_pk_fma_f16 v8, v8, 2.0, v18 op_sel_hi:[1,0,1] neg_lo:[0,0,1] neg_hi:[0,0,1]
	v_pk_fma_f16 v7, v7, 2.0, v14 op_sel_hi:[1,0,1] neg_lo:[0,0,1] neg_hi:[0,0,1]
	v_pk_mul_f16 v14, 0x39a8, v6 op_sel_hi:[0,1]
	v_pk_fma_f16 v12, v15, 2.0, v12 op_sel_hi:[1,0,1] neg_lo:[0,0,1] neg_hi:[0,0,1]
	v_pk_fma_f16 v13, v16, 2.0, v13 op_sel_hi:[1,0,1] neg_lo:[0,0,1] neg_hi:[0,0,1]
	v_pk_fma_f16 v6, 0x39a8, v6, v4 op_sel_hi:[0,1,1]
	v_pk_fma_f16 v5, v5, 2.0, v2 op_sel_hi:[1,0,1] neg_lo:[0,0,1] neg_hi:[0,0,1]
	v_pk_add_f16 v12, v8, v12 op_sel:[0,1] op_sel_hi:[1,0] neg_lo:[0,1] neg_hi:[0,1]
	v_pk_add_f16 v13, v7, v13 op_sel:[1,0] op_sel_hi:[0,1] neg_lo:[0,1] neg_hi:[0,1]
	v_pk_add_f16 v15, v6, v14 op_sel:[0,1] op_sel_hi:[1,0]
	v_pk_add_f16 v6, v6, v14 op_sel:[0,1] op_sel_hi:[1,0] neg_lo:[0,1] neg_hi:[0,1]
	v_pk_fma_f16 v8, v8, 2.0, v12 op_sel_hi:[1,0,1] neg_lo:[0,0,1] neg_hi:[0,0,1]
	v_pk_fma_f16 v7, v7, 2.0, v13 op_sel:[1,0,0] op_sel_hi:[0,0,1] neg_lo:[0,0,1] neg_hi:[0,0,1]
	v_pk_add_f16 v14, v12, v13
	v_pk_add_f16 v13, v12, v13 neg_lo:[0,1] neg_hi:[0,1]
	v_bfi_b32 v6, 0xffff, v15, v6
	v_lshrrev_b32_e32 v16, 16, v8
	v_pk_add_f16 v7, v8, v7 op_sel:[0,1] op_sel_hi:[1,0] neg_lo:[0,1] neg_hi:[0,1]
	v_bfi_b32 v13, 0xffff, v14, v13
	v_pk_fma_f16 v4, v4, 2.0, v6 op_sel_hi:[1,0,1] neg_lo:[0,0,1] neg_hi:[0,0,1]
	v_lshrrev_b32_e32 v18, 16, v7
	v_fma_f16 v8, v8, 2.0, -v7
	v_pk_fma_f16 v12, v12, 2.0, v13 op_sel_hi:[1,0,1] neg_lo:[0,0,1] neg_hi:[0,0,1]
	v_fma_f16 v16, v16, 2.0, -v18
	v_lshlrev_b32_e32 v18, 8, v17
	v_lshlrev_b32_e32 v14, 16, v16
	v_add3_u32 v15, 0, v18, v1
	v_or_b32_sdwa v8, v14, v8 dst_sel:DWORD dst_unused:UNUSED_PAD src0_sel:DWORD src1_sel:WORD_0
	ds_write2_b32 v15, v7, v2 offset0:32 offset1:40
	ds_write2_b32 v15, v12, v4 offset0:16 offset1:24
	ds_write2_b32 v15, v8, v5 offset1:8
	ds_write2_b32 v15, v13, v6 offset0:48 offset1:56
.LBB0_15:
	s_or_b32 exec_lo, exec_lo, s1
	v_bfe_u32 v8, v0, 3, 3
	s_waitcnt lgkmcnt(0)
	s_barrier
	buffer_gl0_inv
	v_lshrrev_b32_e32 v12, 6, v0
	v_lshlrev_b32_e32 v4, 4, v8
	v_cmp_gt_u32_e32 vcc_lo, 0x140, v0
	v_mul_u32_u24_e32 v12, 40, v12
	global_load_dwordx4 v[13:16], v4, s[2:3]
	v_lshlrev_b32_e32 v4, 5, v17
	v_or_b32_e32 v8, v12, v8
	v_add3_u32 v18, 0, v4, v1
	v_lshlrev_b32_e32 v8, 5, v8
	ds_read2st64_b32 v[4:5], v18 offset1:6
	ds_read2st64_b32 v[6:7], v18 offset0:12 offset1:18
	ds_read_b32 v19, v18 offset:6144
	ds_read_u16 v12, v18 offset:2
	v_add3_u32 v8, 0, v8, v1
	s_waitcnt vmcnt(0) lgkmcnt(0)
	s_barrier
	buffer_gl0_inv
	v_lshrrev_b32_e32 v1, 16, v6
	v_lshrrev_b32_e32 v20, 16, v5
	;; [unrolled: 1-line block ×4, first 2 shown]
	v_mul_f16_sdwa v23, v13, v20 dst_sel:DWORD dst_unused:UNUSED_PAD src0_sel:WORD_1 src1_sel:DWORD
	v_mul_f16_sdwa v24, v13, v5 dst_sel:DWORD dst_unused:UNUSED_PAD src0_sel:WORD_1 src1_sel:DWORD
	v_mul_f16_sdwa v25, v14, v1 dst_sel:DWORD dst_unused:UNUSED_PAD src0_sel:WORD_1 src1_sel:DWORD
	v_mul_f16_sdwa v26, v14, v6 dst_sel:DWORD dst_unused:UNUSED_PAD src0_sel:WORD_1 src1_sel:DWORD
	v_mul_f16_sdwa v27, v15, v21 dst_sel:DWORD dst_unused:UNUSED_PAD src0_sel:WORD_1 src1_sel:DWORD
	v_mul_f16_sdwa v28, v15, v7 dst_sel:DWORD dst_unused:UNUSED_PAD src0_sel:WORD_1 src1_sel:DWORD
	v_mul_f16_sdwa v29, v16, v22 dst_sel:DWORD dst_unused:UNUSED_PAD src0_sel:WORD_1 src1_sel:DWORD
	v_mul_f16_sdwa v30, v16, v19 dst_sel:DWORD dst_unused:UNUSED_PAD src0_sel:WORD_1 src1_sel:DWORD
	v_fmac_f16_e32 v23, v13, v5
	v_fma_f16 v5, v13, v20, -v24
	v_fmac_f16_e32 v25, v14, v6
	v_fma_f16 v6, v14, v1, -v26
	;; [unrolled: 2-line block ×4, first 2 shown]
	v_add_f16_e32 v1, v23, v4
	v_add_f16_e32 v7, v25, v27
	v_sub_f16_e32 v14, v23, v25
	v_sub_f16_e32 v16, v29, v27
	v_add_f16_e32 v26, v12, v5
	v_add_f16_e32 v28, v6, v15
	;; [unrolled: 1-line block ×4, first 2 shown]
	v_sub_f16_e32 v19, v5, v13
	v_sub_f16_e32 v22, v25, v23
	;; [unrolled: 1-line block ×8, first 2 shown]
	v_add_f16_e32 v25, v1, v25
	v_fma_f16 v1, -0.5, v7, v4
	v_add_f16_e32 v35, v14, v16
	v_add_f16_e32 v16, v26, v6
	v_fma_f16 v14, -0.5, v28, v12
	v_sub_f16_e32 v20, v6, v15
	v_fmac_f16_e32 v4, -0.5, v21
	v_fmac_f16_e32 v12, -0.5, v33
	v_sub_f16_e32 v32, v13, v15
	v_add_f16_e32 v21, v22, v24
	v_add_f16_e32 v24, v5, v34
	;; [unrolled: 1-line block ×3, first 2 shown]
	v_fmamk_f16 v6, v19, 0xbb9c, v1
	v_add_f16_e32 v25, v16, v15
	v_fmamk_f16 v15, v23, 0x3b9c, v14
	v_fmamk_f16 v7, v20, 0x3b9c, v4
	v_fmac_f16_e32 v4, 0xbb9c, v20
	v_fmamk_f16 v16, v30, 0xbb9c, v12
	v_fmac_f16_e32 v12, 0x3b9c, v30
	v_fmac_f16_e32 v1, 0x3b9c, v19
	;; [unrolled: 1-line block ×3, first 2 shown]
	v_add_f16_e32 v22, v31, v32
	v_fmac_f16_e32 v6, 0xb8b4, v20
	v_fmac_f16_e32 v15, 0x38b4, v30
	;; [unrolled: 1-line block ×8, first 2 shown]
	v_add_f16_e32 v5, v5, v29
	v_add_f16_e32 v13, v25, v13
	v_fmac_f16_e32 v6, 0x34f2, v35
	v_fmac_f16_e32 v15, 0x34f2, v22
	;; [unrolled: 1-line block ×8, first 2 shown]
	v_pack_b32_f16 v19, v5, v13
	v_pack_b32_f16 v20, v6, v15
	;; [unrolled: 1-line block ×5, first 2 shown]
	ds_write2st64_b32 v8, v19, v20 offset1:1
	ds_write2st64_b32 v8, v21, v22 offset0:2 offset1:3
	ds_write_b32 v8, v23 offset:1024
	s_waitcnt lgkmcnt(0)
	s_barrier
	buffer_gl0_inv
	s_and_saveexec_b32 s0, vcc_lo
	s_cbranch_execz .LBB0_17
; %bb.16:
	ds_read2st64_b32 v[5:6], v18 offset1:5
	ds_read2st64_b32 v[7:8], v18 offset0:10 offset1:15
	ds_read2st64_b32 v[1:2], v18 offset0:20 offset1:25
	s_waitcnt lgkmcnt(2)
	v_lshrrev_b32_e32 v15, 16, v6
	s_waitcnt lgkmcnt(1)
	v_lshrrev_b32_e32 v16, 16, v7
	v_lshrrev_b32_e32 v12, 16, v8
	s_waitcnt lgkmcnt(0)
	v_lshrrev_b32_e32 v14, 16, v1
	v_lshrrev_b32_e32 v13, 16, v5
	v_mov_b32_e32 v4, v8
.LBB0_17:
	s_or_b32 exec_lo, exec_lo, s0
	v_mul_hi_u32 v8, 0x6666667, v17
	v_cmp_gt_u32_e64 s0, 0x140, v0
	s_mul_i32 s1, s4, s8
	v_cmp_lt_u32_e32 vcc_lo, 0x13f, v0
	v_mul_lo_u32 v23, v3, 40
	v_mul_hi_u32_u24_e32 v24, 0xcccccd, v0
	v_cndmask_b32_e64 v0, 0, 1, s0
	v_add_nc_u32_e32 v9, s1, v9
	v_mul_u32_u24_e32 v8, 40, v8
	s_or_b32 vcc_lo, vcc_lo, s9
	v_mul_lo_u32 v10, s18, v10
	v_cndmask_b32_e32 v0, v11, v0, vcc_lo
	v_lshlrev_b32_e32 v9, 2, v9
	v_sub_nc_u32_e32 v8, v17, v8
	s_add_i32 s4, 0, 0x1e00
	v_lshrrev_b32_e32 v22, 16, v2
	v_and_b32_e32 v0, 1, v0
	v_readfirstlane_b32 s5, v9
	v_mul_u32_u24_e32 v17, 5, v8
	v_mul_lo_u32 v3, v8, v3
	v_mad_u32_u24 v11, 0xf0, v24, v8
	v_cmp_eq_u32_e32 vcc_lo, 1, v0
	s_mov_b32 s0, s22
	v_lshlrev_b32_e32 v21, 2, v17
	s_mov_b32 s1, s23
	v_mul_lo_u32 v8, s16, v11
	v_add_nc_u32_e32 v9, 40, v11
	v_add_nc_u32_e32 v28, v3, v23
	s_clause 0x1
	global_load_dwordx4 v[17:20], v21, s[2:3] offset:128
	global_load_dword v21, v21, s[2:3] offset:144
	v_add_nc_u32_e32 v24, 0x50, v11
	v_add_nc_u32_e32 v25, 0x78, v11
	v_add_nc_u32_e32 v26, 0xa0, v11
	v_add_nc_u32_e32 v11, 0xc8, v11
	v_add_nc_u32_e32 v30, v28, v23
	v_lshrrev_b32_e32 v32, 3, v28
	v_mul_lo_u32 v9, s16, v9
	v_mul_lo_u32 v24, s16, v24
	;; [unrolled: 1-line block ×5, first 2 shown]
	v_and_b32_e32 v31, 31, v28
	v_lshrrev_b32_e32 v28, 8, v28
	v_add_lshl_u32 v8, v10, v8, 2
	v_add_nc_u32_e32 v33, v30, v23
	v_and_b32_e32 v32, 0x7c, v32
	v_and_b32_e32 v34, 31, v30
	v_lshrrev_b32_e32 v35, 3, v30
	v_lshrrev_b32_e32 v30, 8, v30
	v_and_b32_e32 v28, 0x7c, v28
	v_cndmask_b32_e32 v0, -1, v8, vcc_lo
	v_add_lshl_u32 v8, v10, v9, 2
	v_add_lshl_u32 v9, v10, v24, 2
	;; [unrolled: 1-line block ×5, first 2 shown]
	v_add_nc_u32_e32 v11, v33, v23
	v_add_nc_u32_e32 v26, s4, v32
	v_lshl_add_u32 v32, v34, 2, 0
	v_and_b32_e32 v34, 0x7c, v35
	v_lshrrev_b32_e32 v36, 3, v33
	v_and_b32_e32 v30, 0x7c, v30
	v_and_b32_e32 v35, 31, v33
	v_lshrrev_b32_e32 v33, 8, v33
	v_lshrrev_b32_e32 v29, 3, v3
	v_add_nc_u32_e32 v28, s4, v28
	v_and_b32_e32 v27, 31, v3
	v_lshrrev_b32_e32 v3, 8, v3
	v_add_nc_u32_e32 v23, v11, v23
	v_add_nc_u32_e32 v34, s4, v34
	v_and_b32_e32 v36, 0x7c, v36
	v_and_b32_e32 v37, 31, v11
	v_add_nc_u32_e32 v30, s4, v30
	v_lshl_add_u32 v35, v35, 2, 0
	v_and_b32_e32 v33, 0x7c, v33
	v_lshrrev_b32_e32 v38, 3, v11
	ds_read_b32 v26, v26 offset:128
	ds_read_b32 v28, v28 offset:256
	ds_read_b32 v32, v32 offset:7680
	ds_read_b32 v34, v34 offset:128
	ds_read_b32 v30, v30 offset:256
	ds_read_b32 v35, v35 offset:7680
	v_and_b32_e32 v29, 0x7c, v29
	v_lshrrev_b32_e32 v11, 8, v11
	v_and_b32_e32 v3, 0x7c, v3
	v_lshrrev_b32_e32 v40, 3, v23
	v_lshl_add_u32 v27, v27, 2, 0
	v_and_b32_e32 v39, 31, v23
	v_add_nc_u32_e32 v36, s4, v36
	v_lshrrev_b32_e32 v23, 8, v23
	v_lshl_add_u32 v37, v37, 2, 0
	v_add_nc_u32_e32 v33, s4, v33
	v_and_b32_e32 v38, 0x7c, v38
	v_add_nc_u32_e32 v29, s4, v29
	v_and_b32_e32 v11, 0x7c, v11
	v_add_nc_u32_e32 v3, s4, v3
	v_lshl_add_u32 v31, v31, 2, 0
	v_and_b32_e32 v40, 0x7c, v40
	ds_read_u16 v27, v27 offset:7680
	ds_read_b32 v41, v37 offset:7680
	ds_read_u16 v37, v37 offset:7682
	ds_read_b32 v29, v29 offset:128
	ds_read_b32 v3, v3 offset:256
	ds_read_u16 v31, v31 offset:7680
	v_lshl_add_u32 v39, v39, 2, 0
	ds_read_b32 v36, v36 offset:128
	ds_read_b32 v33, v33 offset:256
	v_and_b32_e32 v23, 0x7c, v23
	v_add_nc_u32_e32 v38, s4, v38
	v_add_nc_u32_e32 v11, s4, v11
	;; [unrolled: 1-line block ×3, first 2 shown]
	ds_read_b32 v42, v39 offset:7680
	ds_read_u16 v39, v39 offset:7682
	v_add_nc_u32_e32 v23, s4, v23
	ds_read_b32 v38, v38 offset:128
	ds_read_b32 v11, v11 offset:256
	;; [unrolled: 1-line block ×4, first 2 shown]
	s_waitcnt lgkmcnt(17)
	v_lshrrev_b32_e32 v43, 16, v32
	s_waitcnt lgkmcnt(16)
	v_mul_f16_sdwa v45, v32, v34 dst_sel:DWORD dst_unused:UNUSED_PAD src0_sel:DWORD src1_sel:WORD_1
	s_waitcnt lgkmcnt(14)
	v_lshrrev_b32_e32 v46, 16, v35
	v_cndmask_b32_e32 v8, -1, v8, vcc_lo
	s_mov_b32 s3, 0x31014000
	v_mul_f16_sdwa v44, v43, v34 dst_sel:DWORD dst_unused:UNUSED_PAD src0_sel:DWORD src1_sel:WORD_1
	s_waitcnt lgkmcnt(12)
	v_lshrrev_b32_e32 v47, 16, v41
	s_waitcnt lgkmcnt(10)
	v_mul_f16_sdwa v48, v27, v29 dst_sel:DWORD dst_unused:UNUSED_PAD src0_sel:DWORD src1_sel:WORD_1
	v_fmac_f16_e32 v45, v43, v34
	s_waitcnt lgkmcnt(8)
	v_mul_f16_sdwa v49, v31, v26 dst_sel:DWORD dst_unused:UNUSED_PAD src0_sel:DWORD src1_sel:WORD_1
	v_fma_f16 v32, v32, v34, -v44
	s_waitcnt lgkmcnt(7)
	v_mul_f16_sdwa v34, v46, v36 dst_sel:DWORD dst_unused:UNUSED_PAD src0_sel:DWORD src1_sel:WORD_1
	v_mul_f16_sdwa v43, v35, v36 dst_sel:DWORD dst_unused:UNUSED_PAD src0_sel:DWORD src1_sel:WORD_1
	;; [unrolled: 1-line block ×3, first 2 shown]
	v_fmac_f16_e32 v48, v47, v29
	s_waitcnt lgkmcnt(5)
	v_lshrrev_b32_e32 v47, 16, v42
	v_fma_f16 v34, v35, v36, -v34
	v_fmac_f16_e32 v43, v46, v36
	s_waitcnt lgkmcnt(3)
	v_mul_f16_sdwa v35, v37, v38 dst_sel:DWORD dst_unused:UNUSED_PAD src0_sel:DWORD src1_sel:WORD_1
	v_mul_f16_sdwa v36, v41, v38 dst_sel:DWORD dst_unused:UNUSED_PAD src0_sel:DWORD src1_sel:WORD_1
	;; [unrolled: 1-line block ×4, first 2 shown]
	v_fma_f16 v27, v27, v29, -v44
	v_mul_f16_sdwa v29, v48, v3 dst_sel:DWORD dst_unused:UNUSED_PAD src0_sel:DWORD src1_sel:WORD_1
	v_mul_f16_sdwa v44, v47, v26 dst_sel:DWORD dst_unused:UNUSED_PAD src0_sel:DWORD src1_sel:WORD_1
	v_fmac_f16_e32 v49, v47, v26
	v_fma_f16 v35, v41, v38, -v35
	v_fmac_f16_e32 v36, v37, v38
	s_waitcnt lgkmcnt(1)
	v_mul_f16_sdwa v37, v39, v40 dst_sel:DWORD dst_unused:UNUSED_PAD src0_sel:DWORD src1_sel:WORD_1
	v_mul_f16_sdwa v38, v42, v40 dst_sel:DWORD dst_unused:UNUSED_PAD src0_sel:DWORD src1_sel:WORD_1
	v_fma_f16 v32, v30, v32, -v50
	v_fmac_f16_e32 v51, v30, v45
	v_mul_f16_sdwa v30, v43, v33 dst_sel:DWORD dst_unused:UNUSED_PAD src0_sel:DWORD src1_sel:WORD_1
	v_mul_f16_sdwa v45, v34, v33 dst_sel:DWORD dst_unused:UNUSED_PAD src0_sel:DWORD src1_sel:WORD_1
	v_fma_f16 v29, v3, v27, -v29
	v_mul_f16_sdwa v27, v27, v3 dst_sel:DWORD dst_unused:UNUSED_PAD src0_sel:DWORD src1_sel:WORD_1
	v_fma_f16 v26, v31, v26, -v44
	v_mul_f16_sdwa v31, v49, v28 dst_sel:DWORD dst_unused:UNUSED_PAD src0_sel:DWORD src1_sel:WORD_1
	v_fmac_f16_e32 v38, v39, v40
	v_fma_f16 v37, v42, v40, -v37
	v_fma_f16 v30, v33, v34, -v30
	v_fmac_f16_e32 v45, v33, v43
	v_mul_f16_sdwa v33, v36, v11 dst_sel:DWORD dst_unused:UNUSED_PAD src0_sel:DWORD src1_sel:WORD_1
	v_mul_f16_sdwa v34, v35, v11 dst_sel:DWORD dst_unused:UNUSED_PAD src0_sel:DWORD src1_sel:WORD_1
	v_fmac_f16_e32 v27, v3, v48
	v_fma_f16 v3, v28, v26, -v31
	v_mul_f16_sdwa v26, v26, v28 dst_sel:DWORD dst_unused:UNUSED_PAD src0_sel:DWORD src1_sel:WORD_1
	s_waitcnt lgkmcnt(0)
	v_mul_f16_sdwa v31, v38, v23 dst_sel:DWORD dst_unused:UNUSED_PAD src0_sel:DWORD src1_sel:WORD_1
	v_mul_f16_sdwa v39, v37, v23 dst_sel:DWORD dst_unused:UNUSED_PAD src0_sel:DWORD src1_sel:WORD_1
	v_fma_f16 v33, v11, v35, -v33
	v_fmac_f16_e32 v34, v11, v36
	v_fmac_f16_e32 v26, v28, v49
	v_fma_f16 v11, v23, v37, -v31
	v_fmac_f16_e32 v39, v23, v38
	s_mov_b32 s2, -2
	v_cndmask_b32_e32 v9, -1, v9, vcc_lo
	v_cndmask_b32_e32 v24, -1, v24, vcc_lo
	;; [unrolled: 1-line block ×4, first 2 shown]
	s_waitcnt vmcnt(1)
	v_mul_f16_sdwa v23, v15, v17 dst_sel:DWORD dst_unused:UNUSED_PAD src0_sel:DWORD src1_sel:WORD_1
	v_mul_f16_sdwa v28, v6, v17 dst_sel:DWORD dst_unused:UNUSED_PAD src0_sel:DWORD src1_sel:WORD_1
	;; [unrolled: 1-line block ×4, first 2 shown]
	s_waitcnt vmcnt(0)
	v_mul_f16_sdwa v41, v22, v21 dst_sel:DWORD dst_unused:UNUSED_PAD src0_sel:DWORD src1_sel:WORD_1
	v_mul_f16_sdwa v42, v2, v21 dst_sel:DWORD dst_unused:UNUSED_PAD src0_sel:DWORD src1_sel:WORD_1
	v_mul_f16_sdwa v31, v16, v18 dst_sel:DWORD dst_unused:UNUSED_PAD src0_sel:DWORD src1_sel:WORD_1
	v_mul_f16_sdwa v35, v7, v18 dst_sel:DWORD dst_unused:UNUSED_PAD src0_sel:DWORD src1_sel:WORD_1
	v_mul_f16_sdwa v38, v14, v20 dst_sel:DWORD dst_unused:UNUSED_PAD src0_sel:DWORD src1_sel:WORD_1
	v_mul_f16_sdwa v40, v1, v20 dst_sel:DWORD dst_unused:UNUSED_PAD src0_sel:DWORD src1_sel:WORD_1
	v_fmac_f16_e32 v23, v6, v17
	v_fma_f16 v6, v15, v17, -v28
	v_fmac_f16_e32 v36, v4, v19
	v_fma_f16 v4, v12, v19, -v37
	;; [unrolled: 2-line block ×5, first 2 shown]
	v_sub_f16_e32 v20, v4, v2
	v_add_f16_e32 v21, v6, v4
	v_add_f16_e32 v4, v4, v2
	;; [unrolled: 1-line block ×4, first 2 shown]
	v_sub_f16_e32 v15, v7, v1
	v_add_f16_e32 v16, v13, v7
	v_add_f16_e32 v7, v7, v1
	;; [unrolled: 1-line block ×4, first 2 shown]
	v_sub_f16_e32 v22, v36, v41
	v_fmac_f16_e32 v6, -0.5, v4
	v_sub_f16_e32 v17, v31, v38
	v_add_f16_e32 v12, v12, v38
	v_fmac_f16_e32 v5, -0.5, v14
	v_add_f16_e32 v1, v16, v1
	v_fmac_f16_e32 v13, -0.5, v7
	;; [unrolled: 2-line block ×3, first 2 shown]
	v_add_f16_e32 v2, v21, v2
	v_fmamk_f16 v16, v22, 0x3aee, v6
	v_fmac_f16_e32 v6, 0xbaee, v22
	v_fmamk_f16 v4, v15, 0xbaee, v5
	v_fmac_f16_e32 v5, 0x3aee, v15
	;; [unrolled: 2-line block ×3, first 2 shown]
	v_fmamk_f16 v15, v20, 0xbaee, v23
	v_add_f16_e32 v17, v12, v7
	v_add_f16_e32 v18, v1, v2
	v_sub_f16_e32 v1, v1, v2
	v_mul_f16_e32 v2, 0xbaee, v16
	v_mul_f16_e32 v16, 0.5, v16
	v_fmac_f16_e32 v23, 0x3aee, v20
	v_sub_f16_e32 v7, v12, v7
	v_mul_f16_e32 v12, 0xbaee, v6
	v_mul_f16_e32 v6, -0.5, v6
	v_mul_f16_e32 v20, v17, v27
	v_mul_f16_e32 v21, v1, v45
	v_fmac_f16_e32 v2, 0.5, v15
	v_fmac_f16_e32 v16, 0x3aee, v15
	v_mul_f16_e32 v19, v18, v27
	v_fmac_f16_e32 v12, -0.5, v23
	v_mul_f16_e32 v22, v7, v45
	v_fmac_f16_e32 v6, 0x3aee, v23
	v_fma_f16 v15, v18, v29, -v20
	v_fmac_f16_e32 v21, v7, v30
	v_add_f16_e32 v7, v4, v2
	v_add_f16_e32 v18, v14, v16
	v_fmac_f16_e32 v19, v17, v29
	v_add_f16_e32 v17, v5, v12
	v_sub_f16_e32 v2, v4, v2
	v_sub_f16_e32 v4, v5, v12
	;; [unrolled: 1-line block ×3, first 2 shown]
	v_add_f16_e32 v20, v13, v6
	v_sub_f16_e32 v6, v13, v6
	v_mul_f16_e32 v13, v18, v26
	v_mul_f16_e32 v14, v7, v26
	;; [unrolled: 1-line block ×3, first 2 shown]
	v_fma_f16 v1, v1, v30, -v22
	v_mul_f16_e32 v22, v5, v34
	v_mul_f16_e32 v23, v2, v34
	;; [unrolled: 1-line block ×3, first 2 shown]
	v_fmac_f16_e32 v13, v7, v3
	v_fma_f16 v3, v18, v3, -v14
	v_lshlrev_b32_e32 v12, 16, v15
	v_mul_f16_e32 v15, v20, v51
	v_fma_f16 v7, v20, v32, -v16
	v_fmac_f16_e32 v22, v2, v33
	v_fma_f16 v2, v5, v33, -v23
	v_mul_f16_e32 v26, v6, v39
	v_fma_f16 v5, v6, v11, -v27
	v_lshlrev_b32_e32 v3, 16, v3
	v_fmac_f16_e32 v15, v17, v32
	v_lshlrev_b32_e32 v6, 16, v7
	v_lshlrev_b32_e32 v1, 16, v1
	v_or_b32_sdwa v12, v12, v19 dst_sel:DWORD dst_unused:UNUSED_PAD src0_sel:DWORD src1_sel:WORD_0
	v_lshlrev_b32_e32 v2, 16, v2
	v_fmac_f16_e32 v26, v4, v11
	v_lshlrev_b32_e32 v4, 16, v5
	v_or_b32_sdwa v3, v3, v13 dst_sel:DWORD dst_unused:UNUSED_PAD src0_sel:DWORD src1_sel:WORD_0
	v_or_b32_sdwa v5, v6, v15 dst_sel:DWORD dst_unused:UNUSED_PAD src0_sel:DWORD src1_sel:WORD_0
	v_or_b32_sdwa v1, v1, v21 dst_sel:DWORD dst_unused:UNUSED_PAD src0_sel:DWORD src1_sel:WORD_0
	buffer_store_dword v12, v0, s[0:3], s5 offen
	v_or_b32_sdwa v0, v2, v22 dst_sel:DWORD dst_unused:UNUSED_PAD src0_sel:DWORD src1_sel:WORD_0
	v_or_b32_sdwa v2, v4, v26 dst_sel:DWORD dst_unused:UNUSED_PAD src0_sel:DWORD src1_sel:WORD_0
	buffer_store_dword v3, v8, s[0:3], s5 offen
	buffer_store_dword v5, v9, s[0:3], s5 offen
	;; [unrolled: 1-line block ×5, first 2 shown]
	s_endpgm
	.section	.rodata,"a",@progbits
	.p2align	6, 0x0
	.amdhsa_kernel fft_rtc_back_len240_factors_8_5_6_wgs_384_tpt_48_half_op_CI_CI_sbcc_twdbase5_3step_dirReg_intrinsicReadWrite
		.amdhsa_group_segment_fixed_size 0
		.amdhsa_private_segment_fixed_size 0
		.amdhsa_kernarg_size 112
		.amdhsa_user_sgpr_count 6
		.amdhsa_user_sgpr_private_segment_buffer 1
		.amdhsa_user_sgpr_dispatch_ptr 0
		.amdhsa_user_sgpr_queue_ptr 0
		.amdhsa_user_sgpr_kernarg_segment_ptr 1
		.amdhsa_user_sgpr_dispatch_id 0
		.amdhsa_user_sgpr_flat_scratch_init 0
		.amdhsa_user_sgpr_private_segment_size 0
		.amdhsa_wavefront_size32 1
		.amdhsa_uses_dynamic_stack 0
		.amdhsa_system_sgpr_private_segment_wavefront_offset 0
		.amdhsa_system_sgpr_workgroup_id_x 1
		.amdhsa_system_sgpr_workgroup_id_y 0
		.amdhsa_system_sgpr_workgroup_id_z 0
		.amdhsa_system_sgpr_workgroup_info 0
		.amdhsa_system_vgpr_workitem_id 0
		.amdhsa_next_free_vgpr 52
		.amdhsa_next_free_sgpr 50
		.amdhsa_reserve_vcc 1
		.amdhsa_reserve_flat_scratch 0
		.amdhsa_float_round_mode_32 0
		.amdhsa_float_round_mode_16_64 0
		.amdhsa_float_denorm_mode_32 3
		.amdhsa_float_denorm_mode_16_64 3
		.amdhsa_dx10_clamp 1
		.amdhsa_ieee_mode 1
		.amdhsa_fp16_overflow 0
		.amdhsa_workgroup_processor_mode 1
		.amdhsa_memory_ordered 1
		.amdhsa_forward_progress 0
		.amdhsa_shared_vgpr_count 0
		.amdhsa_exception_fp_ieee_invalid_op 0
		.amdhsa_exception_fp_denorm_src 0
		.amdhsa_exception_fp_ieee_div_zero 0
		.amdhsa_exception_fp_ieee_overflow 0
		.amdhsa_exception_fp_ieee_underflow 0
		.amdhsa_exception_fp_ieee_inexact 0
		.amdhsa_exception_int_div_zero 0
	.end_amdhsa_kernel
	.text
.Lfunc_end0:
	.size	fft_rtc_back_len240_factors_8_5_6_wgs_384_tpt_48_half_op_CI_CI_sbcc_twdbase5_3step_dirReg_intrinsicReadWrite, .Lfunc_end0-fft_rtc_back_len240_factors_8_5_6_wgs_384_tpt_48_half_op_CI_CI_sbcc_twdbase5_3step_dirReg_intrinsicReadWrite
                                        ; -- End function
	.section	.AMDGPU.csdata,"",@progbits
; Kernel info:
; codeLenInByte = 4804
; NumSgprs: 52
; NumVgprs: 52
; ScratchSize: 0
; MemoryBound: 0
; FloatMode: 240
; IeeeMode: 1
; LDSByteSize: 0 bytes/workgroup (compile time only)
; SGPRBlocks: 6
; VGPRBlocks: 6
; NumSGPRsForWavesPerEU: 52
; NumVGPRsForWavesPerEU: 52
; Occupancy: 15
; WaveLimiterHint : 0
; COMPUTE_PGM_RSRC2:SCRATCH_EN: 0
; COMPUTE_PGM_RSRC2:USER_SGPR: 6
; COMPUTE_PGM_RSRC2:TRAP_HANDLER: 0
; COMPUTE_PGM_RSRC2:TGID_X_EN: 1
; COMPUTE_PGM_RSRC2:TGID_Y_EN: 0
; COMPUTE_PGM_RSRC2:TGID_Z_EN: 0
; COMPUTE_PGM_RSRC2:TIDIG_COMP_CNT: 0
	.text
	.p2alignl 6, 3214868480
	.fill 48, 4, 3214868480
	.type	__hip_cuid_a731e9fdb335061d,@object ; @__hip_cuid_a731e9fdb335061d
	.section	.bss,"aw",@nobits
	.globl	__hip_cuid_a731e9fdb335061d
__hip_cuid_a731e9fdb335061d:
	.byte	0                               ; 0x0
	.size	__hip_cuid_a731e9fdb335061d, 1

	.ident	"AMD clang version 19.0.0git (https://github.com/RadeonOpenCompute/llvm-project roc-6.4.0 25133 c7fe45cf4b819c5991fe208aaa96edf142730f1d)"
	.section	".note.GNU-stack","",@progbits
	.addrsig
	.addrsig_sym __hip_cuid_a731e9fdb335061d
	.amdgpu_metadata
---
amdhsa.kernels:
  - .args:
      - .actual_access:  read_only
        .address_space:  global
        .offset:         0
        .size:           8
        .value_kind:     global_buffer
      - .address_space:  global
        .offset:         8
        .size:           8
        .value_kind:     global_buffer
      - .offset:         16
        .size:           8
        .value_kind:     by_value
      - .actual_access:  read_only
        .address_space:  global
        .offset:         24
        .size:           8
        .value_kind:     global_buffer
      - .actual_access:  read_only
        .address_space:  global
        .offset:         32
        .size:           8
        .value_kind:     global_buffer
      - .actual_access:  read_only
        .address_space:  global
        .offset:         40
        .size:           8
        .value_kind:     global_buffer
      - .offset:         48
        .size:           8
        .value_kind:     by_value
      - .actual_access:  read_only
        .address_space:  global
        .offset:         56
        .size:           8
        .value_kind:     global_buffer
      - .actual_access:  read_only
        .address_space:  global
        .offset:         64
        .size:           8
        .value_kind:     global_buffer
      - .offset:         72
        .size:           4
        .value_kind:     by_value
      - .actual_access:  read_only
        .address_space:  global
        .offset:         80
        .size:           8
        .value_kind:     global_buffer
      - .actual_access:  read_only
        .address_space:  global
        .offset:         88
        .size:           8
        .value_kind:     global_buffer
      - .address_space:  global
        .offset:         96
        .size:           8
        .value_kind:     global_buffer
      - .address_space:  global
        .offset:         104
        .size:           8
        .value_kind:     global_buffer
    .group_segment_fixed_size: 0
    .kernarg_segment_align: 8
    .kernarg_segment_size: 112
    .language:       OpenCL C
    .language_version:
      - 2
      - 0
    .max_flat_workgroup_size: 384
    .name:           fft_rtc_back_len240_factors_8_5_6_wgs_384_tpt_48_half_op_CI_CI_sbcc_twdbase5_3step_dirReg_intrinsicReadWrite
    .private_segment_fixed_size: 0
    .sgpr_count:     52
    .sgpr_spill_count: 0
    .symbol:         fft_rtc_back_len240_factors_8_5_6_wgs_384_tpt_48_half_op_CI_CI_sbcc_twdbase5_3step_dirReg_intrinsicReadWrite.kd
    .uniform_work_group_size: 1
    .uses_dynamic_stack: false
    .vgpr_count:     52
    .vgpr_spill_count: 0
    .wavefront_size: 32
    .workgroup_processor_mode: 1
amdhsa.target:   amdgcn-amd-amdhsa--gfx1030
amdhsa.version:
  - 1
  - 2
...

	.end_amdgpu_metadata
